;; amdgpu-corpus repo=ROCm/rocFFT kind=compiled arch=gfx1100 opt=O3
	.text
	.amdgcn_target "amdgcn-amd-amdhsa--gfx1100"
	.amdhsa_code_object_version 6
	.protected	fft_rtc_fwd_len910_factors_13_2_7_5_wgs_182_tpt_91_dp_op_CI_CI_sbrr_dirReg ; -- Begin function fft_rtc_fwd_len910_factors_13_2_7_5_wgs_182_tpt_91_dp_op_CI_CI_sbrr_dirReg
	.globl	fft_rtc_fwd_len910_factors_13_2_7_5_wgs_182_tpt_91_dp_op_CI_CI_sbrr_dirReg
	.p2align	8
	.type	fft_rtc_fwd_len910_factors_13_2_7_5_wgs_182_tpt_91_dp_op_CI_CI_sbrr_dirReg,@function
fft_rtc_fwd_len910_factors_13_2_7_5_wgs_182_tpt_91_dp_op_CI_CI_sbrr_dirReg: ; @fft_rtc_fwd_len910_factors_13_2_7_5_wgs_182_tpt_91_dp_op_CI_CI_sbrr_dirReg
; %bb.0:
	s_clause 0x2
	s_load_b128 s[16:19], s[0:1], 0x18
	s_load_b128 s[8:11], s[0:1], 0x0
	;; [unrolled: 1-line block ×3, first 2 shown]
	v_mul_u32_u24_e32 v1, 0x2d1, v0
	v_mov_b32_e32 v3, 0
	s_waitcnt lgkmcnt(0)
	s_load_b64 s[20:21], s[16:17], 0x0
	s_load_b64 s[12:13], s[18:19], 0x0
	v_lshrrev_b32_e32 v189, 16, v1
	v_cmp_lt_u64_e64 s2, s[10:11], 2
	v_mov_b32_e32 v1, 0
	v_mov_b32_e32 v2, 0
	;; [unrolled: 1-line block ×3, first 2 shown]
	v_lshl_add_u32 v5, s15, 1, v189
	s_and_b32 vcc_lo, exec_lo, s2
	s_cbranch_vccnz .LBB0_8
; %bb.1:
	s_load_b64 s[2:3], s[0:1], 0x10
	v_mov_b32_e32 v1, 0
	v_mov_b32_e32 v2, 0
	s_add_u32 s14, s18, 8
	s_addc_u32 s15, s19, 0
	s_add_u32 s22, s16, 8
	s_addc_u32 s23, s17, 0
	v_dual_mov_b32 v65, v2 :: v_dual_mov_b32 v64, v1
	s_mov_b64 s[26:27], 1
	s_waitcnt lgkmcnt(0)
	s_add_u32 s24, s2, 8
	s_addc_u32 s25, s3, 0
.LBB0_2:                                ; =>This Inner Loop Header: Depth=1
	s_load_b64 s[28:29], s[24:25], 0x0
                                        ; implicit-def: $vgpr66_vgpr67
	s_mov_b32 s2, exec_lo
	s_waitcnt lgkmcnt(0)
	v_or_b32_e32 v4, s29, v6
	s_delay_alu instid0(VALU_DEP_1)
	v_cmpx_ne_u64_e32 0, v[3:4]
	s_xor_b32 s3, exec_lo, s2
	s_cbranch_execz .LBB0_4
; %bb.3:                                ;   in Loop: Header=BB0_2 Depth=1
	v_cvt_f32_u32_e32 v4, s28
	v_cvt_f32_u32_e32 v7, s29
	s_sub_u32 s2, 0, s28
	s_subb_u32 s30, 0, s29
	s_delay_alu instid0(VALU_DEP_1) | instskip(NEXT) | instid1(VALU_DEP_1)
	v_fmac_f32_e32 v4, 0x4f800000, v7
	v_rcp_f32_e32 v4, v4
	s_waitcnt_depctr 0xfff
	v_mul_f32_e32 v4, 0x5f7ffffc, v4
	s_delay_alu instid0(VALU_DEP_1) | instskip(NEXT) | instid1(VALU_DEP_1)
	v_mul_f32_e32 v7, 0x2f800000, v4
	v_trunc_f32_e32 v7, v7
	s_delay_alu instid0(VALU_DEP_1) | instskip(SKIP_1) | instid1(VALU_DEP_2)
	v_fmac_f32_e32 v4, 0xcf800000, v7
	v_cvt_u32_f32_e32 v7, v7
	v_cvt_u32_f32_e32 v4, v4
	s_delay_alu instid0(VALU_DEP_2) | instskip(NEXT) | instid1(VALU_DEP_2)
	v_mul_lo_u32 v8, s2, v7
	v_mul_hi_u32 v9, s2, v4
	v_mul_lo_u32 v10, s30, v4
	s_delay_alu instid0(VALU_DEP_2) | instskip(SKIP_1) | instid1(VALU_DEP_2)
	v_add_nc_u32_e32 v8, v9, v8
	v_mul_lo_u32 v9, s2, v4
	v_add_nc_u32_e32 v8, v8, v10
	s_delay_alu instid0(VALU_DEP_2) | instskip(NEXT) | instid1(VALU_DEP_2)
	v_mul_hi_u32 v10, v4, v9
	v_mul_lo_u32 v11, v4, v8
	v_mul_hi_u32 v12, v4, v8
	v_mul_hi_u32 v13, v7, v9
	v_mul_lo_u32 v9, v7, v9
	v_mul_hi_u32 v14, v7, v8
	v_mul_lo_u32 v8, v7, v8
	v_add_co_u32 v10, vcc_lo, v10, v11
	v_add_co_ci_u32_e32 v11, vcc_lo, 0, v12, vcc_lo
	s_delay_alu instid0(VALU_DEP_2) | instskip(NEXT) | instid1(VALU_DEP_2)
	v_add_co_u32 v9, vcc_lo, v10, v9
	v_add_co_ci_u32_e32 v9, vcc_lo, v11, v13, vcc_lo
	v_add_co_ci_u32_e32 v10, vcc_lo, 0, v14, vcc_lo
	s_delay_alu instid0(VALU_DEP_2) | instskip(NEXT) | instid1(VALU_DEP_2)
	v_add_co_u32 v8, vcc_lo, v9, v8
	v_add_co_ci_u32_e32 v9, vcc_lo, 0, v10, vcc_lo
	s_delay_alu instid0(VALU_DEP_2) | instskip(NEXT) | instid1(VALU_DEP_2)
	v_add_co_u32 v4, vcc_lo, v4, v8
	v_add_co_ci_u32_e32 v7, vcc_lo, v7, v9, vcc_lo
	s_delay_alu instid0(VALU_DEP_2) | instskip(SKIP_1) | instid1(VALU_DEP_3)
	v_mul_hi_u32 v8, s2, v4
	v_mul_lo_u32 v10, s30, v4
	v_mul_lo_u32 v9, s2, v7
	s_delay_alu instid0(VALU_DEP_1) | instskip(SKIP_1) | instid1(VALU_DEP_2)
	v_add_nc_u32_e32 v8, v8, v9
	v_mul_lo_u32 v9, s2, v4
	v_add_nc_u32_e32 v8, v8, v10
	s_delay_alu instid0(VALU_DEP_2) | instskip(NEXT) | instid1(VALU_DEP_2)
	v_mul_hi_u32 v10, v4, v9
	v_mul_lo_u32 v11, v4, v8
	v_mul_hi_u32 v12, v4, v8
	v_mul_hi_u32 v13, v7, v9
	v_mul_lo_u32 v9, v7, v9
	v_mul_hi_u32 v14, v7, v8
	v_mul_lo_u32 v8, v7, v8
	v_add_co_u32 v10, vcc_lo, v10, v11
	v_add_co_ci_u32_e32 v11, vcc_lo, 0, v12, vcc_lo
	s_delay_alu instid0(VALU_DEP_2) | instskip(NEXT) | instid1(VALU_DEP_2)
	v_add_co_u32 v9, vcc_lo, v10, v9
	v_add_co_ci_u32_e32 v9, vcc_lo, v11, v13, vcc_lo
	v_add_co_ci_u32_e32 v10, vcc_lo, 0, v14, vcc_lo
	s_delay_alu instid0(VALU_DEP_2) | instskip(NEXT) | instid1(VALU_DEP_2)
	v_add_co_u32 v8, vcc_lo, v9, v8
	v_add_co_ci_u32_e32 v9, vcc_lo, 0, v10, vcc_lo
	s_delay_alu instid0(VALU_DEP_2) | instskip(NEXT) | instid1(VALU_DEP_2)
	v_add_co_u32 v4, vcc_lo, v4, v8
	v_add_co_ci_u32_e32 v13, vcc_lo, v7, v9, vcc_lo
	s_delay_alu instid0(VALU_DEP_2) | instskip(SKIP_1) | instid1(VALU_DEP_3)
	v_mul_hi_u32 v14, v5, v4
	v_mad_u64_u32 v[9:10], null, v6, v4, 0
	v_mad_u64_u32 v[7:8], null, v5, v13, 0
	;; [unrolled: 1-line block ×3, first 2 shown]
	s_delay_alu instid0(VALU_DEP_2) | instskip(NEXT) | instid1(VALU_DEP_3)
	v_add_co_u32 v4, vcc_lo, v14, v7
	v_add_co_ci_u32_e32 v7, vcc_lo, 0, v8, vcc_lo
	s_delay_alu instid0(VALU_DEP_2) | instskip(NEXT) | instid1(VALU_DEP_2)
	v_add_co_u32 v4, vcc_lo, v4, v9
	v_add_co_ci_u32_e32 v4, vcc_lo, v7, v10, vcc_lo
	v_add_co_ci_u32_e32 v7, vcc_lo, 0, v12, vcc_lo
	s_delay_alu instid0(VALU_DEP_2) | instskip(NEXT) | instid1(VALU_DEP_2)
	v_add_co_u32 v4, vcc_lo, v4, v11
	v_add_co_ci_u32_e32 v9, vcc_lo, 0, v7, vcc_lo
	s_delay_alu instid0(VALU_DEP_2) | instskip(SKIP_1) | instid1(VALU_DEP_3)
	v_mul_lo_u32 v10, s29, v4
	v_mad_u64_u32 v[7:8], null, s28, v4, 0
	v_mul_lo_u32 v11, s28, v9
	s_delay_alu instid0(VALU_DEP_2) | instskip(NEXT) | instid1(VALU_DEP_2)
	v_sub_co_u32 v7, vcc_lo, v5, v7
	v_add3_u32 v8, v8, v11, v10
	s_delay_alu instid0(VALU_DEP_1) | instskip(NEXT) | instid1(VALU_DEP_1)
	v_sub_nc_u32_e32 v10, v6, v8
	v_subrev_co_ci_u32_e64 v10, s2, s29, v10, vcc_lo
	v_add_co_u32 v11, s2, v4, 2
	s_delay_alu instid0(VALU_DEP_1) | instskip(SKIP_3) | instid1(VALU_DEP_3)
	v_add_co_ci_u32_e64 v12, s2, 0, v9, s2
	v_sub_co_u32 v13, s2, v7, s28
	v_sub_co_ci_u32_e32 v8, vcc_lo, v6, v8, vcc_lo
	v_subrev_co_ci_u32_e64 v10, s2, 0, v10, s2
	v_cmp_le_u32_e32 vcc_lo, s28, v13
	s_delay_alu instid0(VALU_DEP_3) | instskip(SKIP_1) | instid1(VALU_DEP_4)
	v_cmp_eq_u32_e64 s2, s29, v8
	v_cndmask_b32_e64 v13, 0, -1, vcc_lo
	v_cmp_le_u32_e32 vcc_lo, s29, v10
	v_cndmask_b32_e64 v14, 0, -1, vcc_lo
	v_cmp_le_u32_e32 vcc_lo, s28, v7
	;; [unrolled: 2-line block ×3, first 2 shown]
	v_cndmask_b32_e64 v15, 0, -1, vcc_lo
	v_cmp_eq_u32_e32 vcc_lo, s29, v10
	s_delay_alu instid0(VALU_DEP_2) | instskip(SKIP_3) | instid1(VALU_DEP_3)
	v_cndmask_b32_e64 v7, v15, v7, s2
	v_cndmask_b32_e32 v10, v14, v13, vcc_lo
	v_add_co_u32 v13, vcc_lo, v4, 1
	v_add_co_ci_u32_e32 v14, vcc_lo, 0, v9, vcc_lo
	v_cmp_ne_u32_e32 vcc_lo, 0, v10
	s_delay_alu instid0(VALU_DEP_2) | instskip(NEXT) | instid1(VALU_DEP_4)
	v_cndmask_b32_e32 v8, v14, v12, vcc_lo
	v_cndmask_b32_e32 v10, v13, v11, vcc_lo
	v_cmp_ne_u32_e32 vcc_lo, 0, v7
	s_delay_alu instid0(VALU_DEP_2)
	v_dual_cndmask_b32 v67, v9, v8 :: v_dual_cndmask_b32 v66, v4, v10
.LBB0_4:                                ;   in Loop: Header=BB0_2 Depth=1
	s_and_not1_saveexec_b32 s2, s3
	s_cbranch_execz .LBB0_6
; %bb.5:                                ;   in Loop: Header=BB0_2 Depth=1
	v_cvt_f32_u32_e32 v4, s28
	s_sub_i32 s3, 0, s28
	v_mov_b32_e32 v67, v3
	s_delay_alu instid0(VALU_DEP_2) | instskip(SKIP_2) | instid1(VALU_DEP_1)
	v_rcp_iflag_f32_e32 v4, v4
	s_waitcnt_depctr 0xfff
	v_mul_f32_e32 v4, 0x4f7ffffe, v4
	v_cvt_u32_f32_e32 v4, v4
	s_delay_alu instid0(VALU_DEP_1) | instskip(NEXT) | instid1(VALU_DEP_1)
	v_mul_lo_u32 v7, s3, v4
	v_mul_hi_u32 v7, v4, v7
	s_delay_alu instid0(VALU_DEP_1) | instskip(NEXT) | instid1(VALU_DEP_1)
	v_add_nc_u32_e32 v4, v4, v7
	v_mul_hi_u32 v4, v5, v4
	s_delay_alu instid0(VALU_DEP_1) | instskip(SKIP_1) | instid1(VALU_DEP_2)
	v_mul_lo_u32 v7, v4, s28
	v_add_nc_u32_e32 v8, 1, v4
	v_sub_nc_u32_e32 v7, v5, v7
	s_delay_alu instid0(VALU_DEP_1) | instskip(SKIP_1) | instid1(VALU_DEP_2)
	v_subrev_nc_u32_e32 v9, s28, v7
	v_cmp_le_u32_e32 vcc_lo, s28, v7
	v_dual_cndmask_b32 v7, v7, v9 :: v_dual_cndmask_b32 v4, v4, v8
	s_delay_alu instid0(VALU_DEP_1) | instskip(NEXT) | instid1(VALU_DEP_2)
	v_cmp_le_u32_e32 vcc_lo, s28, v7
	v_add_nc_u32_e32 v8, 1, v4
	s_delay_alu instid0(VALU_DEP_1)
	v_cndmask_b32_e32 v66, v4, v8, vcc_lo
.LBB0_6:                                ;   in Loop: Header=BB0_2 Depth=1
	s_or_b32 exec_lo, exec_lo, s2
	s_delay_alu instid0(VALU_DEP_1) | instskip(NEXT) | instid1(VALU_DEP_2)
	v_mul_lo_u32 v4, v67, s28
	v_mul_lo_u32 v9, v66, s29
	s_load_b64 s[2:3], s[22:23], 0x0
	v_mad_u64_u32 v[7:8], null, v66, s28, 0
	s_load_b64 s[28:29], s[14:15], 0x0
	s_add_u32 s26, s26, 1
	s_addc_u32 s27, s27, 0
	s_add_u32 s14, s14, 8
	s_addc_u32 s15, s15, 0
	s_add_u32 s22, s22, 8
	s_delay_alu instid0(VALU_DEP_1) | instskip(SKIP_3) | instid1(VALU_DEP_2)
	v_add3_u32 v4, v8, v9, v4
	v_sub_co_u32 v8, vcc_lo, v5, v7
	s_addc_u32 s23, s23, 0
	s_add_u32 s24, s24, 8
	v_sub_co_ci_u32_e32 v6, vcc_lo, v6, v4, vcc_lo
	s_addc_u32 s25, s25, 0
	s_waitcnt lgkmcnt(0)
	s_delay_alu instid0(VALU_DEP_1)
	v_mul_lo_u32 v9, s2, v6
	v_mul_lo_u32 v10, s3, v8
	v_mad_u64_u32 v[4:5], null, s2, v8, v[1:2]
	v_mul_lo_u32 v11, s28, v6
	v_mul_lo_u32 v12, s29, v8
	v_mad_u64_u32 v[6:7], null, s28, v8, v[64:65]
	v_cmp_ge_u64_e64 s2, s[26:27], s[10:11]
	v_add3_u32 v2, v10, v5, v9
	s_delay_alu instid0(VALU_DEP_3) | instskip(NEXT) | instid1(VALU_DEP_4)
	v_dual_mov_b32 v1, v4 :: v_dual_mov_b32 v64, v6
	v_add3_u32 v65, v12, v7, v11
	s_delay_alu instid0(VALU_DEP_4)
	s_and_b32 vcc_lo, exec_lo, s2
	s_cbranch_vccnz .LBB0_9
; %bb.7:                                ;   in Loop: Header=BB0_2 Depth=1
	v_dual_mov_b32 v5, v66 :: v_dual_mov_b32 v6, v67
	s_branch .LBB0_2
.LBB0_8:
	v_dual_mov_b32 v65, v2 :: v_dual_mov_b32 v64, v1
	s_delay_alu instid0(VALU_DEP_2)
	v_dual_mov_b32 v67, v6 :: v_dual_mov_b32 v66, v5
.LBB0_9:
	s_load_b64 s[0:1], s[0:1], 0x28
	v_mul_hi_u32 v3, 0x2d02d03, v0
	s_lshl_b64 s[10:11], s[10:11], 3
                                        ; implicit-def: $vgpr14_vgpr15
                                        ; implicit-def: $vgpr18_vgpr19
                                        ; implicit-def: $vgpr22_vgpr23
                                        ; implicit-def: $vgpr26_vgpr27
                                        ; implicit-def: $vgpr30_vgpr31
                                        ; implicit-def: $vgpr38_vgpr39
                                        ; implicit-def: $vgpr50_vgpr51
                                        ; implicit-def: $vgpr46_vgpr47
                                        ; implicit-def: $vgpr58_vgpr59
                                        ; implicit-def: $vgpr54_vgpr55
                                        ; implicit-def: $vgpr62_vgpr63
                                        ; implicit-def: $vgpr42_vgpr43
                                        ; implicit-def: $vgpr34_vgpr35
	s_delay_alu instid0(SALU_CYCLE_1) | instskip(SKIP_1) | instid1(VALU_DEP_1)
	s_add_u32 s2, s18, s10
	s_addc_u32 s3, s19, s11
	v_mul_u32_u24_e32 v3, 0x5b, v3
	s_delay_alu instid0(VALU_DEP_1) | instskip(SKIP_2) | instid1(VALU_DEP_2)
	v_sub_nc_u32_e32 v188, v0, v3
	s_waitcnt lgkmcnt(0)
	v_cmp_gt_u64_e32 vcc_lo, s[0:1], v[66:67]
	v_cmp_gt_u32_e64 s0, 0x46, v188
	s_delay_alu instid0(VALU_DEP_1) | instskip(NEXT) | instid1(SALU_CYCLE_1)
	s_and_b32 s1, vcc_lo, s0
	s_and_saveexec_b32 s14, s1
	s_cbranch_execz .LBB0_11
; %bb.10:
	s_add_u32 s10, s16, s10
	s_addc_u32 s11, s17, s11
	v_mad_u64_u32 v[3:4], null, s20, v188, 0
	s_load_b64 s[10:11], s[10:11], 0x0
	v_add_nc_u32_e32 v15, 0x46, v188
	v_add_nc_u32_e32 v16, 0x8c, v188
	s_delay_alu instid0(VALU_DEP_3) | instskip(NEXT) | instid1(VALU_DEP_3)
	v_dual_mov_b32 v0, v4 :: v_dual_add_nc_u32 v21, 0x348, v188
	v_mad_u64_u32 v[5:6], null, s20, v15, 0
	v_add_nc_u32_e32 v17, 0xd2, v188
	s_delay_alu instid0(VALU_DEP_4) | instskip(NEXT) | instid1(VALU_DEP_4)
	v_mad_u64_u32 v[7:8], null, s20, v16, 0
	v_mad_u64_u32 v[13:14], null, s21, v188, v[0:1]
	v_lshlrev_b64 v[0:1], 4, v[1:2]
	v_mov_b32_e32 v2, v6
	v_mad_u64_u32 v[11:12], null, s20, v17, 0
	v_dual_mov_b32 v6, v8 :: v_dual_add_nc_u32 v19, 0x118, v188
	s_waitcnt lgkmcnt(0)
	v_mul_lo_u32 v4, s11, v66
	v_mul_lo_u32 v18, s10, v67
	v_mad_u64_u32 v[9:10], null, s10, v66, 0
	v_mov_b32_e32 v8, v12
	s_delay_alu instid0(VALU_DEP_2) | instskip(SKIP_3) | instid1(VALU_DEP_4)
	v_add3_u32 v10, v10, v18, v4
	v_mov_b32_e32 v4, v13
	v_mad_u64_u32 v[12:13], null, s21, v15, v[2:3]
	v_add_nc_u32_e32 v15, 0x1a4, v188
	v_lshlrev_b64 v[9:10], 4, v[9:10]
	s_delay_alu instid0(VALU_DEP_4) | instskip(SKIP_4) | instid1(VALU_DEP_1)
	v_lshlrev_b64 v[2:3], 4, v[3:4]
	v_mad_u64_u32 v[13:14], null, s21, v16, v[6:7]
	v_add_nc_u32_e32 v16, 0x1ea, v188
	v_mov_b32_e32 v6, v12
	v_add_co_u32 v4, s1, s4, v9
	v_add_co_ci_u32_e64 v9, s1, s5, v10, s1
	s_delay_alu instid0(VALU_DEP_2) | instskip(NEXT) | instid1(VALU_DEP_1)
	v_add_co_u32 v18, s1, v4, v0
	v_add_co_ci_u32_e64 v20, s1, v9, v1, s1
	v_lshlrev_b64 v[0:1], 4, v[5:6]
	s_delay_alu instid0(VALU_DEP_3) | instskip(SKIP_1) | instid1(VALU_DEP_4)
	v_add_co_u32 v2, s1, v18, v2
	v_mad_u64_u32 v[4:5], null, s21, v17, v[8:9]
	v_add_co_ci_u32_e64 v3, s1, v20, v3, s1
	s_delay_alu instid0(VALU_DEP_4)
	v_add_co_u32 v0, s1, v18, v0
	v_mad_u64_u32 v[5:6], null, s20, v19, 0
	v_dual_mov_b32 v8, v13 :: v_dual_add_nc_u32 v17, 0x2bc, v188
	v_add_nc_u32_e32 v13, 0x15e, v188
	v_add_co_ci_u32_e64 v1, s1, v20, v1, s1
	s_clause 0x1
	global_load_b128 v[32:35], v[2:3], off
	global_load_b128 v[40:43], v[0:1], off
	v_mov_b32_e32 v12, v4
	v_mad_u64_u32 v[3:4], null, s20, v13, 0
	v_mov_b32_e32 v2, v6
	v_lshlrev_b64 v[0:1], 4, v[7:8]
	s_delay_alu instid0(VALU_DEP_2) | instskip(SKIP_2) | instid1(VALU_DEP_4)
	v_mad_u64_u32 v[8:9], null, s21, v19, v[2:3]
	v_add_nc_u32_e32 v19, 0x302, v188
	v_lshlrev_b64 v[6:7], 4, v[11:12]
	v_add_co_u32 v0, s1, v18, v0
	v_mov_b32_e32 v2, v4
	v_add_co_ci_u32_e64 v1, s1, v20, v1, s1
	v_mad_u64_u32 v[9:10], null, s20, v15, 0
	v_add_co_u32 v11, s1, v18, v6
	s_delay_alu instid0(VALU_DEP_1)
	v_add_co_ci_u32_e64 v12, s1, v20, v7, s1
	v_mov_b32_e32 v6, v8
	v_mad_u64_u32 v[7:8], null, s21, v13, v[2:3]
	v_mad_u64_u32 v[13:14], null, s20, v16, 0
	v_mov_b32_e32 v2, v10
	s_clause 0x1
	global_load_b128 v[60:63], v[0:1], off
	global_load_b128 v[52:55], v[11:12], off
	v_lshlrev_b64 v[0:1], 4, v[5:6]
	v_dual_mov_b32 v4, v7 :: v_dual_add_nc_u32 v11, 0x230, v188
	v_mad_u64_u32 v[5:6], null, s21, v15, v[2:3]
	v_mov_b32_e32 v2, v14
	s_delay_alu instid0(VALU_DEP_4) | instskip(NEXT) | instid1(VALU_DEP_4)
	v_add_co_u32 v0, s1, v18, v0
	v_lshlrev_b64 v[3:4], 4, v[3:4]
	v_add_co_ci_u32_e64 v1, s1, v20, v1, s1
	v_mov_b32_e32 v10, v5
	s_delay_alu instid0(VALU_DEP_3) | instskip(NEXT) | instid1(VALU_DEP_2)
	v_mad_u64_u32 v[5:6], null, s21, v16, v[2:3]
	v_lshlrev_b64 v[6:7], 4, v[9:10]
	v_mad_u64_u32 v[8:9], null, s20, v11, 0
	v_add_co_u32 v2, s1, v18, v3
	s_delay_alu instid0(VALU_DEP_1)
	v_add_co_ci_u32_e64 v3, s1, v20, v4, s1
	v_mov_b32_e32 v14, v5
	s_clause 0x1
	global_load_b128 v[56:59], v[0:1], off
	global_load_b128 v[44:47], v[2:3], off
	v_mov_b32_e32 v2, v9
	v_add_nc_u32_e32 v16, 0x276, v188
	v_lshlrev_b64 v[3:4], 4, v[13:14]
	v_add_co_u32 v0, s1, v18, v6
	s_delay_alu instid0(VALU_DEP_1) | instskip(SKIP_1) | instid1(VALU_DEP_4)
	v_add_co_ci_u32_e64 v1, s1, v20, v7, s1
	v_mad_u64_u32 v[12:13], null, s20, v19, 0
	v_mad_u64_u32 v[5:6], null, s21, v11, v[2:3]
	;; [unrolled: 1-line block ×4, first 2 shown]
	v_add_co_u32 v2, s1, v18, v3
	s_delay_alu instid0(VALU_DEP_1) | instskip(NEXT) | instid1(VALU_DEP_4)
	v_add_co_ci_u32_e64 v3, s1, v20, v4, s1
	v_dual_mov_b32 v9, v5 :: v_dual_mov_b32 v4, v7
	s_delay_alu instid0(VALU_DEP_4)
	v_mov_b32_e32 v5, v11
	s_clause 0x1
	global_load_b128 v[48:51], v[0:1], off
	global_load_b128 v[36:39], v[2:3], off
	v_mov_b32_e32 v0, v13
	v_lshlrev_b64 v[1:2], 4, v[8:9]
	v_mad_u64_u32 v[14:15], null, s21, v16, v[4:5]
	v_mad_u64_u32 v[15:16], null, s21, v17, v[5:6]
	;; [unrolled: 1-line block ×3, first 2 shown]
	s_delay_alu instid0(VALU_DEP_4) | instskip(SKIP_2) | instid1(VALU_DEP_4)
	v_mad_u64_u32 v[8:9], null, s21, v19, v[0:1]
	v_add_co_u32 v1, s1, v18, v1
	v_mov_b32_e32 v7, v14
	v_dual_mov_b32 v11, v15 :: v_dual_mov_b32 v0, v5
	v_add_co_ci_u32_e64 v2, s1, v20, v2, s1
	s_delay_alu instid0(VALU_DEP_3) | instskip(SKIP_1) | instid1(VALU_DEP_4)
	v_lshlrev_b64 v[5:6], 4, v[6:7]
	v_mov_b32_e32 v13, v8
	v_mad_u64_u32 v[14:15], null, s21, v21, v[0:1]
	v_lshlrev_b64 v[9:10], 4, v[10:11]
	s_delay_alu instid0(VALU_DEP_4) | instskip(NEXT) | instid1(VALU_DEP_4)
	v_add_co_u32 v7, s1, v18, v5
	v_lshlrev_b64 v[11:12], 4, v[12:13]
	v_add_co_ci_u32_e64 v8, s1, v20, v6, s1
	v_mov_b32_e32 v5, v14
	v_add_co_u32 v9, s1, v18, v9
	s_delay_alu instid0(VALU_DEP_1) | instskip(NEXT) | instid1(VALU_DEP_3)
	v_add_co_ci_u32_e64 v10, s1, v20, v10, s1
	v_lshlrev_b64 v[3:4], 4, v[4:5]
	v_add_co_u32 v5, s1, v18, v11
	s_delay_alu instid0(VALU_DEP_1) | instskip(NEXT) | instid1(VALU_DEP_3)
	v_add_co_ci_u32_e64 v6, s1, v20, v12, s1
	v_add_co_u32 v3, s1, v18, v3
	s_delay_alu instid0(VALU_DEP_1)
	v_add_co_ci_u32_e64 v4, s1, v20, v4, s1
	s_clause 0x4
	global_load_b128 v[28:31], v[1:2], off
	global_load_b128 v[24:27], v[7:8], off
	;; [unrolled: 1-line block ×5, first 2 shown]
.LBB0_11:
	s_or_b32 exec_lo, exec_lo, s14
	s_waitcnt vmcnt(0)
	v_add_f64 v[110:111], v[12:13], v[40:41]
	v_add_f64 v[128:129], v[40:41], -v[12:13]
	s_mov_b32 s4, 0xe00740e9
	s_mov_b32 s38, 0x4267c47c
	;; [unrolled: 1-line block ×12, first 2 shown]
	v_add_f64 v[114:115], v[14:15], v[42:43]
	v_add_f64 v[120:121], v[42:43], -v[14:15]
	v_add_f64 v[70:71], v[16:17], v[60:61]
	v_add_f64 v[68:69], v[60:61], -v[16:17]
	s_mov_b32 s18, 0xb2365da1
	s_mov_b32 s24, 0x2ef20147
	;; [unrolled: 1-line block ×8, first 2 shown]
	v_add_f64 v[130:131], v[18:19], v[62:63]
	v_add_f64 v[126:127], v[62:63], -v[18:19]
	v_add_f64 v[152:153], v[20:21], v[52:53]
	v_add_f64 v[142:143], v[52:53], -v[20:21]
	s_mov_b32 s43, 0x3fedeba7
	s_mov_b32 s42, s24
	v_add_f64 v[136:137], v[54:55], -v[22:23]
	v_add_f64 v[146:147], v[22:23], v[54:55]
	v_add_f64 v[90:91], v[24:25], v[56:57]
	v_add_f64 v[124:125], v[56:57], -v[24:25]
	s_mov_b32 s28, 0xd0032e0c
	s_mov_b32 s40, 0x24c2f84
	v_mul_f64 v[160:161], v[110:111], s[4:5]
	v_mul_f64 v[162:163], v[128:129], s[38:39]
	;; [unrolled: 1-line block ×6, first 2 shown]
	s_mov_b32 s29, 0xbfe7f3cc
	s_mov_b32 s41, 0x3fe5384d
	;; [unrolled: 1-line block ×4, first 2 shown]
	v_add_f64 v[134:135], v[58:59], -v[26:27]
	v_add_f64 v[108:109], v[26:27], v[58:59]
	v_add_f64 v[74:75], v[28:29], v[44:45]
	v_add_f64 v[102:103], v[44:45], -v[28:29]
	s_mov_b32 s35, 0xbfe5384d
	s_mov_b32 s31, 0x3fefc445
	v_mul_f64 v[122:123], v[70:71], s[10:11]
	v_mul_f64 v[132:133], v[68:69], s[16:17]
	;; [unrolled: 1-line block ×6, first 2 shown]
	s_mov_b32 s34, s40
	s_mov_b32 s30, s20
	v_add_f64 v[116:117], v[46:47], -v[30:31]
	v_add_f64 v[86:87], v[30:31], v[46:47]
	v_add_f64 v[112:113], v[48:49], -v[36:37]
	v_and_b32_e32 v189, 1, v189
	v_mul_f64 v[138:139], v[152:153], s[14:15]
	v_mul_f64 v[148:149], v[142:143], s[20:21]
	;; [unrolled: 1-line block ×10, first 2 shown]
	v_fma_f64 v[0:1], v[120:121], s[38:39], v[160:161]
	v_fma_f64 v[2:3], v[114:115], s[4:5], -v[162:163]
	v_fma_f64 v[4:5], v[120:121], s[16:17], v[180:181]
	v_fma_f64 v[6:7], v[114:115], s[10:11], -v[182:183]
	;; [unrolled: 2-line block ×3, first 2 shown]
	v_mul_f64 v[176:177], v[90:91], s[4:5]
	v_mul_f64 v[178:179], v[124:125], s[36:37]
	v_cmp_eq_u32_e64 s1, 1, v189
	v_mul_f64 v[94:95], v[74:75], s[28:29]
	v_mul_f64 v[96:97], v[102:103], s[34:35]
	;; [unrolled: 1-line block ×4, first 2 shown]
	v_fma_f64 v[72:73], v[126:127], s[16:17], v[122:123]
	v_fma_f64 v[76:77], v[130:131], s[10:11], -v[132:133]
	v_fma_f64 v[78:79], v[126:127], s[24:25], v[140:141]
	v_fma_f64 v[80:81], v[130:131], s[18:19], -v[144:145]
	;; [unrolled: 2-line block ×3, first 2 shown]
	v_mul_f64 v[104:105], v[74:75], s[10:11]
	v_mul_f64 v[106:107], v[102:103], s[16:17]
	v_cndmask_b32_e64 v189, 0, 0x38e, s1
	v_fma_f64 v[88:89], v[136:137], s[20:21], v[138:139]
	v_fma_f64 v[92:93], v[146:147], s[14:15], -v[148:149]
	v_fma_f64 v[118:119], v[136:137], s[26:27], v[154:155]
	v_fma_f64 v[190:191], v[146:147], s[22:23], -v[164:165]
	;; [unrolled: 2-line block ×5, first 2 shown]
	v_add_f64 v[0:1], v[32:33], v[0:1]
	v_add_f64 v[2:3], v[34:35], v[2:3]
	;; [unrolled: 1-line block ×6, first 2 shown]
	v_fma_f64 v[204:205], v[134:135], s[36:37], v[176:177]
	v_fma_f64 v[206:207], v[108:109], s[4:5], -v[178:179]
	v_lshlrev_b32_e32 v189, 4, v189
	v_fma_f64 v[208:209], v[86:87], s[14:15], -v[100:101]
	v_fma_f64 v[210:211], v[116:117], s[16:17], v[104:105]
	v_fma_f64 v[212:213], v[86:87], s[10:11], -v[106:107]
	v_add_f64 v[0:1], v[72:73], v[0:1]
	v_add_f64 v[2:3], v[76:77], v[2:3]
	;; [unrolled: 1-line block ×8, first 2 shown]
	v_mul_f64 v[80:81], v[112:113], s[26:27]
	v_mul_f64 v[84:85], v[112:113], s[36:37]
	v_add_f64 v[0:1], v[88:89], v[0:1]
	v_add_f64 v[2:3], v[92:93], v[2:3]
	;; [unrolled: 1-line block ×6, first 2 shown]
	v_add_f64 v[118:119], v[50:51], -v[38:39]
	v_mul_f64 v[78:79], v[72:73], s[22:23]
	v_mul_f64 v[82:83], v[72:73], s[4:5]
	;; [unrolled: 1-line block ×4, first 2 shown]
	v_fma_f64 v[190:191], v[116:117], s[34:35], v[94:95]
	v_fma_f64 v[192:193], v[86:87], s[28:29], -v[96:97]
	v_fma_f64 v[194:195], v[116:117], s[30:31], v[98:99]
	v_add_f64 v[0:1], v[196:197], v[0:1]
	v_add_f64 v[2:3], v[198:199], v[2:3]
	;; [unrolled: 1-line block ×6, first 2 shown]
	v_fma_f64 v[198:199], v[76:77], s[22:23], -v[80:81]
	v_fma_f64 v[196:197], v[118:119], s[26:27], v[78:79]
	v_fma_f64 v[200:201], v[118:119], s[36:37], v[82:83]
	v_fma_f64 v[202:203], v[76:77], s[4:5], -v[84:85]
	v_fma_f64 v[204:205], v[118:119], s[34:35], v[88:89]
	v_fma_f64 v[206:207], v[76:77], s[28:29], -v[92:93]
	v_add_f64 v[0:1], v[190:191], v[0:1]
	v_add_f64 v[2:3], v[192:193], v[2:3]
	;; [unrolled: 1-line block ×12, first 2 shown]
	s_and_saveexec_b32 s33, s0
	s_cbranch_execz .LBB0_13
; %bb.12:
	v_add_f64 v[42:43], v[42:43], v[34:35]
	v_add_f64 v[40:41], v[40:41], v[32:33]
	v_mul_f64 v[190:191], v[120:121], s[24:25]
	v_mul_f64 v[192:193], v[114:115], s[14:15]
	;; [unrolled: 1-line block ×7, first 2 shown]
	s_mov_b32 s1, 0x3fea55e2
	s_mov_b32 s0, s16
	v_add_f64 v[42:43], v[62:63], v[42:43]
	v_add_f64 v[40:41], v[60:61], v[40:41]
	v_mul_f64 v[60:61], v[128:129], s[34:35]
	v_mul_f64 v[62:63], v[120:121], s[34:35]
	v_fma_f64 v[210:211], v[110:111], s[18:19], v[190:191]
	v_add_f64 v[184:185], v[184:185], -v[194:195]
	v_add_f64 v[182:183], v[196:197], v[182:183]
	v_add_f64 v[180:181], v[180:181], -v[198:199]
	v_add_f64 v[162:163], v[200:201], v[162:163]
	v_mul_f64 v[194:195], v[108:109], s[4:5]
	v_mul_f64 v[196:197], v[130:131], s[22:23]
	;; [unrolled: 1-line block ×4, first 2 shown]
	v_add_f64 v[176:177], v[176:177], -v[212:213]
	v_mul_f64 v[212:213], v[134:135], s[40:41]
	v_add_f64 v[42:43], v[54:55], v[42:43]
	v_add_f64 v[40:41], v[52:53], v[40:41]
	v_mul_f64 v[52:53], v[128:129], s[26:27]
	v_mul_f64 v[54:55], v[120:121], s[26:27]
	;; [unrolled: 1-line block ×4, first 2 shown]
	v_fma_f64 v[204:205], v[114:115], s[28:29], -v[60:61]
	v_fma_f64 v[206:207], v[110:111], s[28:29], v[62:63]
	v_fma_f64 v[60:61], v[114:115], s[28:29], v[60:61]
	v_fma_f64 v[62:63], v[110:111], s[28:29], -v[62:63]
	v_add_f64 v[210:211], v[32:33], v[210:211]
	v_add_f64 v[184:185], v[32:33], v[184:185]
	;; [unrolled: 1-line block ×5, first 2 shown]
	v_mul_f64 v[194:195], v[146:147], s[22:23]
	v_add_f64 v[170:171], v[200:201], v[170:171]
	v_mul_f64 v[200:201], v[130:131], s[18:19]
	v_add_f64 v[158:159], v[196:197], v[158:159]
	v_mul_f64 v[196:197], v[142:143], s[34:35]
	v_add_f64 v[166:167], v[166:167], -v[198:199]
	v_mul_f64 v[198:199], v[142:143], s[16:17]
	v_mul_f64 v[142:143], v[142:143], s[36:37]
	v_add_f64 v[172:173], v[172:173], -v[212:213]
	v_add_f64 v[42:43], v[58:59], v[42:43]
	v_add_f64 v[40:41], v[56:57], v[40:41]
	v_mul_f64 v[56:57], v[136:137], s[34:35]
	v_fma_f64 v[58:59], v[114:115], s[22:23], -v[52:53]
	v_fma_f64 v[202:203], v[110:111], s[22:23], v[54:55]
	v_fma_f64 v[52:53], v[114:115], s[22:23], v[52:53]
	v_fma_f64 v[54:55], v[110:111], s[22:23], -v[54:55]
	v_fma_f64 v[208:209], v[114:115], s[18:19], -v[128:129]
	v_fma_f64 v[114:115], v[114:115], s[18:19], v[128:129]
	v_fma_f64 v[110:111], v[110:111], s[18:19], -v[190:191]
	v_add_f64 v[128:129], v[192:193], v[186:187]
	v_add_f64 v[120:121], v[160:161], -v[120:121]
	v_mul_f64 v[160:161], v[126:127], s[36:37]
	v_mul_f64 v[186:187], v[136:137], s[16:17]
	v_mul_f64 v[190:191], v[126:127], s[40:41]
	v_mul_f64 v[192:193], v[126:127], s[26:27]
	v_add_f64 v[204:205], v[34:35], v[204:205]
	v_add_f64 v[206:207], v[32:33], v[206:207]
	;; [unrolled: 1-line block ×5, first 2 shown]
	v_mul_f64 v[194:195], v[108:109], s[18:19]
	v_add_f64 v[144:145], v[200:201], v[144:145]
	v_fma_f64 v[200:201], v[146:147], s[28:29], -v[196:197]
	v_fma_f64 v[196:197], v[146:147], s[28:29], v[196:197]
	v_fma_f64 v[212:213], v[146:147], s[10:11], -v[198:199]
	v_fma_f64 v[198:199], v[146:147], s[10:11], v[198:199]
	v_add_f64 v[42:43], v[46:47], v[42:43]
	v_add_f64 v[40:41], v[44:45], v[40:41]
	v_mul_f64 v[44:45], v[126:127], s[30:31]
	v_mul_f64 v[46:47], v[136:137], s[36:37]
	v_fma_f64 v[214:215], v[152:153], s[28:29], v[56:57]
	v_add_f64 v[58:59], v[34:35], v[58:59]
	v_add_f64 v[202:203], v[32:33], v[202:203]
	;; [unrolled: 1-line block ×10, first 2 shown]
	v_fma_f64 v[120:121], v[70:71], s[4:5], v[160:161]
	v_fma_f64 v[56:57], v[152:153], s[28:29], -v[56:57]
	v_fma_f64 v[160:161], v[70:71], s[4:5], -v[160:161]
	v_fma_f64 v[162:163], v[152:153], s[10:11], v[186:187]
	v_add_f64 v[150:151], v[150:151], -v[192:193]
	v_mul_f64 v[192:193], v[136:137], s[26:27]
	v_add_f64 v[168:169], v[194:195], v[168:169]
	v_mul_f64 v[194:195], v[68:69], s[30:31]
	v_mul_f64 v[136:137], v[136:137], s[20:21]
	v_add_f64 v[144:145], v[144:145], v[182:183]
	v_mul_f64 v[182:183], v[76:77], s[22:23]
	v_add_f64 v[42:43], v[50:51], v[42:43]
	v_add_f64 v[40:41], v[48:49], v[40:41]
	v_fma_f64 v[48:49], v[70:71], s[14:15], v[44:45]
	v_fma_f64 v[50:51], v[152:153], s[10:11], -v[186:187]
	v_fma_f64 v[44:45], v[70:71], s[14:15], -v[44:45]
	v_fma_f64 v[186:187], v[152:153], s[4:5], v[46:47]
	v_fma_f64 v[46:47], v[152:153], s[4:5], -v[46:47]
	v_fma_f64 v[152:153], v[70:71], s[28:29], v[190:191]
	v_fma_f64 v[70:71], v[70:71], s[28:29], -v[190:191]
	v_mul_f64 v[190:191], v[108:109], s[28:29]
	v_add_f64 v[128:129], v[158:159], v[128:129]
	v_mul_f64 v[158:159], v[116:117], s[36:37]
	v_add_f64 v[120:121], v[120:121], v[202:203]
	;; [unrolled: 2-line block ×4, first 2 shown]
	v_add_f64 v[154:155], v[154:155], -v[192:193]
	v_fma_f64 v[192:193], v[146:147], s[4:5], -v[142:143]
	v_fma_f64 v[142:143], v[146:147], s[4:5], v[142:143]
	v_mul_f64 v[146:147], v[146:147], s[14:15]
	v_add_f64 v[136:137], v[138:139], -v[136:137]
	v_mul_f64 v[138:139], v[134:135], s[20:21]
	v_mul_f64 v[184:185], v[76:77], s[4:5]
	v_add_f64 v[80:81], v[182:183], v[80:81]
	v_add_f64 v[38:39], v[38:39], v[42:43]
	;; [unrolled: 1-line block ×3, first 2 shown]
	v_fma_f64 v[40:41], v[130:131], s[14:15], -v[194:195]
	v_fma_f64 v[42:43], v[130:131], s[14:15], v[194:195]
	v_add_f64 v[44:45], v[44:45], v[62:63]
	v_add_f64 v[48:49], v[48:49], v[206:207]
	v_mul_f64 v[206:207], v[86:87], s[14:15]
	v_add_f64 v[152:153], v[152:153], v[210:211]
	v_add_f64 v[70:71], v[70:71], v[110:111]
	;; [unrolled: 1-line block ×3, first 2 shown]
	v_mul_f64 v[190:191], v[126:127], s[24:25]
	v_mul_f64 v[126:127], v[126:127], s[16:17]
	;; [unrolled: 1-line block ×4, first 2 shown]
	v_add_f64 v[128:129], v[170:171], v[128:129]
	v_add_f64 v[120:121], v[214:215], v[120:121]
	v_mul_f64 v[214:215], v[112:113], s[30:31]
	v_add_f64 v[54:55], v[56:57], v[54:55]
	v_mul_f64 v[56:57], v[112:113], s[24:25]
	v_mul_f64 v[112:113], v[112:113], s[0:1]
	v_add_f64 v[96:97], v[160:161], v[96:97]
	v_add_f64 v[146:147], v[146:147], v[148:149]
	;; [unrolled: 1-line block ×7, first 2 shown]
	v_mul_f64 v[204:205], v[116:117], s[30:31]
	v_mul_f64 v[60:61], v[116:117], s[16:17]
	v_fma_f64 v[38:39], v[90:91], s[10:11], v[202:203]
	v_add_f64 v[44:45], v[50:51], v[44:45]
	v_add_f64 v[46:47], v[46:47], v[70:71]
	;; [unrolled: 1-line block ×3, first 2 shown]
	v_add_f64 v[140:141], v[140:141], -v[190:191]
	v_mul_f64 v[190:191], v[68:69], s[36:37]
	v_mul_f64 v[68:69], v[68:69], s[40:41]
	v_add_f64 v[122:123], v[122:123], -v[126:127]
	v_mul_f64 v[126:127], v[118:119], s[26:27]
	s_mov_b32 s27, 0x3fcea1e5
	v_add_f64 v[70:71], v[186:187], v[152:153]
	v_add_f64 v[62:63], v[62:63], v[106:107]
	;; [unrolled: 1-line block ×3, first 2 shown]
	v_fma_f64 v[152:153], v[74:75], s[4:5], -v[158:159]
	v_add_f64 v[26:27], v[26:27], v[30:31]
	v_add_f64 v[24:25], v[24:25], v[28:29]
	;; [unrolled: 1-line block ×4, first 2 shown]
	v_add_f64 v[98:99], v[98:99], -v[204:205]
	v_add_f64 v[60:61], v[104:105], -v[60:61]
	v_add_f64 v[38:39], v[38:39], v[120:121]
	v_mul_f64 v[212:213], v[118:119], s[24:25]
	v_add_f64 v[140:141], v[140:141], v[180:181]
	v_fma_f64 v[148:149], v[130:131], s[4:5], -v[190:191]
	v_fma_f64 v[190:191], v[130:131], s[4:5], v[190:191]
	v_fma_f64 v[194:195], v[130:131], s[28:29], -v[68:69]
	v_fma_f64 v[68:69], v[130:131], s[28:29], v[68:69]
	v_mul_f64 v[130:131], v[130:131], s[10:11]
	v_add_f64 v[32:33], v[122:123], v[32:33]
	v_mul_f64 v[180:181], v[118:119], s[36:37]
	v_add_f64 v[78:79], v[78:79], -v[126:127]
	v_fma_f64 v[126:127], v[76:77], s[10:11], -v[112:113]
	v_add_f64 v[22:23], v[22:23], v[26:27]
	v_add_f64 v[20:21], v[20:21], v[24:25]
	v_fma_f64 v[24:25], v[76:77], s[14:15], -v[214:215]
	v_add_f64 v[140:141], v[154:155], v[140:141]
	v_add_f64 v[58:59], v[148:149], v[58:59]
	v_mul_f64 v[148:149], v[124:125], s[0:1]
	v_add_f64 v[52:53], v[190:191], v[52:53]
	v_add_f64 v[68:69], v[68:69], v[114:115]
	;; [unrolled: 1-line block ×3, first 2 shown]
	v_mul_f64 v[132:133], v[134:135], s[24:25]
	v_mul_f64 v[134:135], v[134:135], s[26:27]
	v_add_f64 v[194:195], v[194:195], v[208:209]
	v_mul_f64 v[208:209], v[102:103], s[24:25]
	v_mul_f64 v[114:115], v[116:117], s[24:25]
	;; [unrolled: 1-line block ×5, first 2 shown]
	v_add_f64 v[32:33], v[136:137], v[32:33]
	v_add_f64 v[82:83], v[82:83], -v[180:181]
	v_add_f64 v[58:59], v[200:201], v[58:59]
	v_fma_f64 v[36:37], v[108:109], s[10:11], -v[148:149]
	v_fma_f64 v[122:123], v[108:109], s[10:11], v[148:149]
	v_fma_f64 v[148:149], v[90:91], s[10:11], -v[202:203]
	v_add_f64 v[34:35], v[130:131], v[34:35]
	v_add_f64 v[132:133], v[156:157], -v[132:133]
	v_mul_f64 v[156:157], v[124:125], s[20:21]
	v_mul_f64 v[124:125], v[124:125], s[26:27]
	v_add_f64 v[52:53], v[196:197], v[52:53]
	v_add_f64 v[68:69], v[142:143], v[68:69]
	;; [unrolled: 1-line block ×4, first 2 shown]
	v_fma_f64 v[130:131], v[90:91], s[14:15], v[138:139]
	v_fma_f64 v[138:139], v[90:91], s[14:15], -v[138:139]
	v_add_f64 v[50:51], v[192:193], v[194:195]
	v_mul_f64 v[196:197], v[118:119], s[30:31]
	v_fma_f64 v[28:29], v[86:87], s[18:19], -v[208:209]
	v_fma_f64 v[30:31], v[74:75], s[18:19], v[114:115]
	v_fma_f64 v[136:137], v[86:87], s[18:19], v[208:209]
	v_fma_f64 v[114:115], v[74:75], s[18:19], -v[114:115]
	v_fma_f64 v[104:105], v[86:87], s[22:23], -v[102:103]
	v_mul_f64 v[200:201], v[76:77], s[28:29]
	v_fma_f64 v[150:151], v[74:75], s[4:5], v[158:159]
	v_fma_f64 v[106:107], v[74:75], s[22:23], v[116:117]
	v_fma_f64 v[74:75], v[74:75], s[22:23], -v[116:117]
	v_add_f64 v[94:95], v[94:95], -v[190:191]
	v_add_f64 v[36:37], v[36:37], v[58:59]
	v_add_f64 v[54:55], v[148:149], v[54:55]
	;; [unrolled: 1-line block ×3, first 2 shown]
	v_fma_f64 v[146:147], v[86:87], s[4:5], -v[110:111]
	v_fma_f64 v[210:211], v[108:109], s[14:15], -v[156:157]
	v_fma_f64 v[156:157], v[108:109], s[14:15], v[156:157]
	v_fma_f64 v[202:203], v[108:109], s[22:23], -v[124:125]
	v_fma_f64 v[108:109], v[108:109], s[22:23], v[124:125]
	v_fma_f64 v[124:125], v[90:91], s[22:23], v[134:135]
	v_fma_f64 v[90:91], v[90:91], s[22:23], -v[134:135]
	v_fma_f64 v[110:111], v[86:87], s[4:5], v[110:111]
	v_fma_f64 v[86:87], v[86:87], s[22:23], v[102:103]
	v_add_f64 v[52:53], v[122:123], v[52:53]
	v_add_f64 v[102:103], v[174:175], v[142:143]
	v_mul_f64 v[134:135], v[118:119], s[34:35]
	v_add_f64 v[116:117], v[176:177], v[144:145]
	v_mul_f64 v[118:119], v[118:119], s[0:1]
	v_add_f64 v[46:47], v[138:139], v[46:47]
	v_add_f64 v[70:71], v[130:131], v[70:71]
	;; [unrolled: 1-line block ×3, first 2 shown]
	v_fma_f64 v[26:27], v[72:73], s[14:15], v[196:197]
	v_fma_f64 v[122:123], v[76:77], s[18:19], -v[56:57]
	v_fma_f64 v[56:57], v[76:77], s[18:19], v[56:57]
	v_add_f64 v[30:31], v[30:31], v[38:39]
	v_fma_f64 v[120:121], v[72:73], s[14:15], -v[196:197]
	v_add_f64 v[92:93], v[200:201], v[92:93]
	v_add_f64 v[28:29], v[28:29], v[36:37]
	;; [unrolled: 1-line block ×13, first 2 shown]
	v_fma_f64 v[90:91], v[76:77], s[14:15], v[214:215]
	v_add_f64 v[88:89], v[88:89], -v[134:135]
	v_add_f64 v[60:61], v[60:61], v[116:117]
	v_fma_f64 v[124:125], v[72:73], s[18:19], v[212:213]
	v_fma_f64 v[128:129], v[72:73], s[18:19], -v[212:213]
	v_fma_f64 v[130:131], v[72:73], s[10:11], v[118:119]
	v_fma_f64 v[76:77], v[76:77], s[10:11], v[112:113]
	v_fma_f64 v[72:73], v[72:73], s[10:11], -v[118:119]
	v_add_f64 v[46:47], v[74:75], v[46:47]
	v_add_f64 v[74:75], v[94:95], v[32:33]
	;; [unrolled: 1-line block ×35, first 2 shown]
	v_mul_u32_u24_e32 v52, 0xd0, v188
	s_delay_alu instid0(VALU_DEP_1)
	v_add3_u32 v52, 0, v52, v189
	ds_store_b128 v52, v[0:3] offset:160
	ds_store_b128 v52, v[4:7] offset:176
	;; [unrolled: 1-line block ×11, first 2 shown]
	ds_store_b128 v52, v[12:15]
	ds_store_b128 v52, v[8:11] offset:192
.LBB0_13:
	s_or_b32 exec_lo, exec_lo, s33
	v_add_nc_u32_e32 v56, 0x5b, v188
	v_add_nc_u32_e32 v57, 0xb6, v188
	v_and_b32_e32 v12, 0xff, v188
	v_add_nc_u32_e32 v13, 0x111, v188
	v_add_nc_u32_e32 v58, 0x16c, v188
	v_and_b32_e32 v14, 0xff, v56
	v_and_b32_e32 v15, 0xffff, v57
	v_mul_lo_u16 v62, 0x4f, v12
	v_and_b32_e32 v12, 0xffff, v13
	s_load_b64 s[2:3], s[2:3], 0x0
	v_mul_lo_u16 v61, 0x4f, v14
	v_and_b32_e32 v14, 0xffff, v58
	v_mul_u32_u24_e32 v15, 0x4ec5, v15
	v_lshrrev_b16 v63, 10, v62
	v_mul_u32_u24_e32 v12, 0x4ec5, v12
	v_lshrrev_b16 v78, 10, v61
	v_mul_u32_u24_e32 v14, 0x4ec5, v14
	v_lshrrev_b32_e32 v79, 18, v15
	v_mul_lo_u16 v15, v63, 13
	v_lshrrev_b32_e32 v80, 18, v12
	v_mul_lo_u16 v12, v78, 13
	;; [unrolled: 2-line block ×3, first 2 shown]
	v_sub_nc_u16 v15, v188, v15
	v_mul_lo_u16 v16, v80, 13
	v_sub_nc_u16 v12, v56, v12
	v_mul_lo_u16 v17, v81, 13
	v_sub_nc_u16 v14, v57, v14
	v_and_b32_e32 v15, 0xff, v15
	v_sub_nc_u16 v13, v13, v16
	v_and_b32_e32 v12, 0xff, v12
	;; [unrolled: 2-line block ×3, first 2 shown]
	v_lshlrev_b32_e32 v82, 4, v15
	v_and_b32_e32 v17, 0xffff, v13
	v_lshlrev_b32_e32 v83, 4, v12
	v_and_b32_e32 v20, 0xffff, v16
	s_waitcnt lgkmcnt(0)
	s_barrier
	buffer_gl0_inv
	v_lshlrev_b32_e32 v84, 4, v14
	global_load_b128 v[12:15], v82, s[8:9]
	v_lshlrev_b32_e32 v85, 4, v17
	global_load_b128 v[16:19], v83, s[8:9]
	v_lshlrev_b32_e32 v86, 4, v20
	s_clause 0x2
	global_load_b128 v[20:23], v84, s[8:9]
	global_load_b128 v[24:27], v85, s[8:9]
	;; [unrolled: 1-line block ×3, first 2 shown]
	v_lshlrev_b32_e32 v60, 4, v188
	v_cmp_gt_u32_e64 s0, 39, v188
	s_delay_alu instid0(VALU_DEP_2)
	v_add3_u32 v59, 0, v60, v189
	ds_load_b128 v[32:35], v59 offset:7280
	ds_load_b128 v[36:39], v59 offset:8736
	;; [unrolled: 1-line block ×6, first 2 shown]
	v_add3_u32 v60, 0, v189, v60
	s_waitcnt vmcnt(4) lgkmcnt(5)
	v_mul_f64 v[68:69], v[34:35], v[14:15]
	v_mul_f64 v[14:15], v[32:33], v[14:15]
	s_waitcnt vmcnt(3) lgkmcnt(4)
	v_mul_f64 v[70:71], v[38:39], v[18:19]
	v_mul_f64 v[18:19], v[36:37], v[18:19]
	;; [unrolled: 3-line block ×5, first 2 shown]
	v_fma_f64 v[68:69], v[32:33], v[12:13], -v[68:69]
	v_fma_f64 v[12:13], v[34:35], v[12:13], v[14:15]
	v_fma_f64 v[14:15], v[36:37], v[16:17], -v[70:71]
	v_fma_f64 v[16:17], v[38:39], v[16:17], v[18:19]
	;; [unrolled: 2-line block ×5, first 2 shown]
	ds_load_b128 v[20:23], v60
	ds_load_b128 v[24:27], v59 offset:1456
	ds_load_b128 v[28:31], v59 offset:2912
	;; [unrolled: 1-line block ×3, first 2 shown]
	s_waitcnt lgkmcnt(0)
	s_barrier
	buffer_gl0_inv
	v_add_f64 v[36:37], v[20:21], -v[68:69]
	v_add_f64 v[38:39], v[22:23], -v[12:13]
	;; [unrolled: 1-line block ×10, first 2 shown]
	v_fma_f64 v[48:49], v[20:21], 2.0, -v[36:37]
	v_fma_f64 v[50:51], v[22:23], 2.0, -v[38:39]
	;; [unrolled: 1-line block ×10, first 2 shown]
	v_and_b32_e32 v52, 0xffff, v63
	v_and_b32_e32 v53, 0xffff, v78
	v_mad_u32_u24 v54, 0x1a0, v79, 0
	v_mad_u32_u24 v55, 0x1a0, v80, 0
	;; [unrolled: 1-line block ×5, first 2 shown]
	v_add3_u32 v54, v54, v84, v189
	v_add3_u32 v55, v55, v85, v189
	;; [unrolled: 1-line block ×5, first 2 shown]
	ds_store_b128 v52, v[48:51]
	ds_store_b128 v52, v[36:39] offset:208
	ds_store_b128 v53, v[24:27]
	ds_store_b128 v53, v[40:43] offset:208
	ds_store_b128 v54, v[28:31]
	ds_store_b128 v54, v[44:47] offset:208
	ds_store_b128 v55, v[32:35]
	ds_store_b128 v55, v[12:15] offset:208
	ds_store_b128 v63, v[20:23]
	ds_store_b128 v63, v[16:19] offset:208
	s_waitcnt lgkmcnt(0)
	s_barrier
	buffer_gl0_inv
	ds_load_b128 v[28:31], v60
	ds_load_b128 v[48:51], v59 offset:2080
	ds_load_b128 v[44:47], v59 offset:4160
	;; [unrolled: 1-line block ×6, first 2 shown]
                                        ; implicit-def: $vgpr26_vgpr27
	s_and_saveexec_b32 s1, s0
	s_cbranch_execz .LBB0_15
; %bb.14:
	ds_load_b128 v[12:15], v59 offset:1456
	ds_load_b128 v[20:23], v59 offset:3536
	;; [unrolled: 1-line block ×7, first 2 shown]
.LBB0_15:
	s_or_b32 exec_lo, exec_lo, s1
	v_lshrrev_b16 v102, 11, v62
	s_mov_b32 s10, 0x37e14327
	s_mov_b32 s14, 0xe976ee23
	;; [unrolled: 1-line block ×4, first 2 shown]
	v_mul_lo_u16 v62, v102, 26
	s_mov_b32 s4, 0x429ad128
	s_mov_b32 s5, 0x3febfeb5
	;; [unrolled: 1-line block ×4, first 2 shown]
	v_sub_nc_u16 v62, v188, v62
	s_mov_b32 s16, 0xaaaaaaaa
	s_mov_b32 s24, 0xb247c609
	;; [unrolled: 1-line block ×4, first 2 shown]
	v_and_b32_e32 v103, 0xff, v62
	s_mov_b32 s25, 0x3fd5d0dc
	s_mov_b32 s19, 0x3fe77f67
	;; [unrolled: 1-line block ×4, first 2 shown]
	v_mul_u32_u24_e32 v62, 6, v103
	s_mov_b32 s22, s18
	s_mov_b32 s26, s24
	;; [unrolled: 1-line block ×4, first 2 shown]
	v_lshlrev_b32_e32 v62, 4, v62
	s_clause 0x5
	global_load_b128 v[68:71], v62, s[8:9] offset:208
	global_load_b128 v[72:75], v62, s[8:9] offset:224
	;; [unrolled: 1-line block ×6, first 2 shown]
	s_waitcnt vmcnt(0) lgkmcnt(0)
	s_barrier
	buffer_gl0_inv
	v_mul_f64 v[62:63], v[50:51], v[70:71]
	v_mul_f64 v[70:71], v[48:49], v[70:71]
	;; [unrolled: 1-line block ×12, first 2 shown]
	v_fma_f64 v[48:49], v[48:49], v[68:69], -v[62:63]
	v_fma_f64 v[50:51], v[50:51], v[68:69], v[70:71]
	v_fma_f64 v[44:45], v[44:45], v[72:73], -v[92:93]
	v_fma_f64 v[46:47], v[46:47], v[72:73], v[74:75]
	;; [unrolled: 2-line block ×6, first 2 shown]
	v_add_f64 v[62:63], v[48:49], v[52:53]
	v_add_f64 v[68:69], v[50:51], v[54:55]
	;; [unrolled: 1-line block ×4, first 2 shown]
	v_add_f64 v[40:41], v[44:45], -v[40:41]
	v_add_f64 v[42:43], v[46:47], -v[42:43]
	v_add_f64 v[44:45], v[36:37], v[32:33]
	v_add_f64 v[46:47], v[38:39], v[34:35]
	v_add_f64 v[32:33], v[32:33], -v[36:37]
	v_add_f64 v[34:35], v[34:35], -v[38:39]
	;; [unrolled: 1-line block ×4, first 2 shown]
	v_add_f64 v[48:49], v[70:71], v[62:63]
	v_add_f64 v[50:51], v[72:73], v[68:69]
	v_add_f64 v[52:53], v[62:63], -v[44:45]
	v_add_f64 v[54:55], v[68:69], -v[46:47]
	v_add_f64 v[74:75], v[32:33], -v[40:41]
	v_add_f64 v[76:77], v[34:35], -v[42:43]
	v_add_f64 v[78:79], v[40:41], -v[36:37]
	v_add_f64 v[80:81], v[42:43], -v[38:39]
	v_add_f64 v[40:41], v[32:33], v[40:41]
	v_add_f64 v[42:43], v[34:35], v[42:43]
	v_add_f64 v[32:33], v[36:37], -v[32:33]
	v_add_f64 v[34:35], v[38:39], -v[34:35]
	;; [unrolled: 1-line block ×4, first 2 shown]
	v_add_f64 v[48:49], v[44:45], v[48:49]
	v_add_f64 v[50:51], v[46:47], v[50:51]
	v_add_f64 v[44:45], v[44:45], -v[70:71]
	v_add_f64 v[46:47], v[46:47], -v[72:73]
	v_mul_f64 v[52:53], v[52:53], s[10:11]
	v_mul_f64 v[54:55], v[54:55], s[10:11]
	;; [unrolled: 1-line block ×6, first 2 shown]
	v_add_f64 v[36:37], v[40:41], v[36:37]
	v_add_f64 v[38:39], v[42:43], v[38:39]
	;; [unrolled: 1-line block ×4, first 2 shown]
	v_mul_f64 v[70:71], v[44:45], s[20:21]
	v_mul_f64 v[72:73], v[46:47], s[20:21]
	v_fma_f64 v[40:41], v[44:45], s[20:21], v[52:53]
	v_fma_f64 v[42:43], v[46:47], s[20:21], v[54:55]
	v_fma_f64 v[44:45], v[32:33], s[24:25], v[74:75]
	v_fma_f64 v[46:47], v[34:35], s[24:25], v[76:77]
	v_fma_f64 v[74:75], v[78:79], s[4:5], -v[74:75]
	v_fma_f64 v[76:77], v[80:81], s[4:5], -v[76:77]
	;; [unrolled: 1-line block ×6, first 2 shown]
	v_fma_f64 v[48:49], v[48:49], s[16:17], v[28:29]
	v_fma_f64 v[50:51], v[50:51], s[16:17], v[30:31]
	v_fma_f64 v[62:63], v[62:63], s[18:19], -v[70:71]
	v_fma_f64 v[68:69], v[68:69], s[18:19], -v[72:73]
	v_fma_f64 v[70:71], v[36:37], s[28:29], v[44:45]
	v_fma_f64 v[72:73], v[38:39], s[28:29], v[46:47]
	;; [unrolled: 1-line block ×6, first 2 shown]
	v_add_f64 v[78:79], v[40:41], v[48:49]
	v_add_f64 v[80:81], v[42:43], v[50:51]
	;; [unrolled: 1-line block ×6, first 2 shown]
	v_and_b32_e32 v62, 0xffff, v102
	v_lshlrev_b32_e32 v63, 4, v103
	s_delay_alu instid0(VALU_DEP_2) | instskip(NEXT) | instid1(VALU_DEP_1)
	v_mad_u32_u24 v62, 0xb60, v62, 0
	v_add3_u32 v62, v62, v63, v189
	v_add_f64 v[32:33], v[72:73], v[78:79]
	v_add_f64 v[34:35], v[80:81], -v[70:71]
	v_add_f64 v[36:37], v[76:77], v[52:53]
	v_add_f64 v[38:39], v[54:55], -v[74:75]
	v_add_f64 v[40:41], v[48:49], -v[44:45]
	v_add_f64 v[42:43], v[46:47], v[50:51]
	v_add_f64 v[44:45], v[44:45], v[48:49]
	v_add_f64 v[46:47], v[50:51], -v[46:47]
	v_add_f64 v[48:49], v[52:53], -v[76:77]
	v_add_f64 v[50:51], v[74:75], v[54:55]
	v_add_f64 v[52:53], v[78:79], -v[72:73]
	v_add_f64 v[54:55], v[70:71], v[80:81]
	ds_store_b128 v62, v[28:31]
	ds_store_b128 v62, v[32:35] offset:416
	ds_store_b128 v62, v[36:39] offset:832
	;; [unrolled: 1-line block ×6, first 2 shown]
	s_and_saveexec_b32 s1, s0
	s_cbranch_execz .LBB0_17
; %bb.16:
	v_lshrrev_b16 v63, 11, v61
	s_delay_alu instid0(VALU_DEP_1) | instskip(NEXT) | instid1(VALU_DEP_1)
	v_mul_lo_u16 v28, v63, 26
	v_sub_nc_u16 v28, v56, v28
	s_delay_alu instid0(VALU_DEP_1) | instskip(NEXT) | instid1(VALU_DEP_1)
	v_and_b32_e32 v74, 0xff, v28
	v_mul_u32_u24_e32 v28, 6, v74
	s_delay_alu instid0(VALU_DEP_1)
	v_lshlrev_b32_e32 v48, 4, v28
	s_clause 0x5
	global_load_b128 v[28:31], v48, s[8:9] offset:224
	global_load_b128 v[32:35], v48, s[8:9] offset:272
	;; [unrolled: 1-line block ×6, first 2 shown]
	s_waitcnt vmcnt(5)
	v_mul_f64 v[52:53], v[16:17], v[30:31]
	s_waitcnt vmcnt(4)
	v_mul_f64 v[54:55], v[8:9], v[34:35]
	;; [unrolled: 2-line block ×4, first 2 shown]
	v_mul_f64 v[30:31], v[18:19], v[30:31]
	v_mul_f64 v[34:35], v[10:11], v[34:35]
	;; [unrolled: 1-line block ×4, first 2 shown]
	s_waitcnt vmcnt(1)
	v_mul_f64 v[70:71], v[6:7], v[46:47]
	s_waitcnt vmcnt(0)
	v_mul_f64 v[72:73], v[2:3], v[50:51]
	v_mul_f64 v[50:51], v[0:1], v[50:51]
	;; [unrolled: 1-line block ×3, first 2 shown]
	v_fma_f64 v[18:19], v[18:19], v[28:29], v[52:53]
	v_fma_f64 v[10:11], v[10:11], v[32:33], v[54:55]
	;; [unrolled: 1-line block ×4, first 2 shown]
	v_fma_f64 v[16:17], v[16:17], v[28:29], -v[30:31]
	v_fma_f64 v[8:9], v[8:9], v[32:33], -v[34:35]
	;; [unrolled: 1-line block ×6, first 2 shown]
	v_fma_f64 v[2:3], v[2:3], v[48:49], v[50:51]
	v_fma_f64 v[6:7], v[6:7], v[44:45], v[46:47]
	v_add_f64 v[28:29], v[18:19], v[10:11]
	v_add_f64 v[30:31], v[22:23], v[26:27]
	;; [unrolled: 1-line block ×3, first 2 shown]
	v_add_f64 v[8:9], v[16:17], -v[8:9]
	v_add_f64 v[34:35], v[20:21], v[24:25]
	v_add_f64 v[36:37], v[4:5], -v[0:1]
	v_add_f64 v[0:1], v[0:1], v[4:5]
	v_add_f64 v[16:17], v[2:3], v[6:7]
	v_add_f64 v[4:5], v[20:21], -v[24:25]
	v_add_f64 v[2:3], v[6:7], -v[2:3]
	v_add_f64 v[6:7], v[18:19], -v[10:11]
	v_add_f64 v[10:11], v[22:23], -v[26:27]
	v_add_f64 v[20:21], v[28:29], v[30:31]
	v_add_f64 v[18:19], v[32:33], v[34:35]
	v_add_f64 v[22:23], v[36:37], -v[8:9]
	v_add_f64 v[26:27], v[34:35], -v[0:1]
	;; [unrolled: 1-line block ×7, first 2 shown]
	v_add_f64 v[8:9], v[36:37], v[8:9]
	v_add_f64 v[36:37], v[4:5], -v[36:37]
	v_add_f64 v[6:7], v[2:3], v[6:7]
	v_add_f64 v[48:49], v[10:11], -v[2:3]
	;; [unrolled: 2-line block ×3, first 2 shown]
	v_add_f64 v[18:19], v[0:1], v[18:19]
	v_mul_f64 v[22:23], v[22:23], s[14:15]
	v_mul_f64 v[26:27], v[26:27], s[10:11]
	;; [unrolled: 1-line block ×4, first 2 shown]
	v_add_f64 v[4:5], v[8:9], v[4:5]
	v_add_f64 v[6:7], v[6:7], v[10:11]
	;; [unrolled: 1-line block ×3, first 2 shown]
	v_add_f64 v[14:15], v[28:29], -v[30:31]
	v_mul_f64 v[28:29], v[16:17], s[20:21]
	v_mul_f64 v[30:31], v[40:41], s[14:15]
	v_add_f64 v[0:1], v[12:13], v[18:19]
	v_mul_f64 v[40:41], v[42:43], s[4:5]
	v_add_f64 v[12:13], v[32:33], -v[34:35]
	v_mul_f64 v[32:33], v[44:45], s[20:21]
	v_fma_f64 v[8:9], v[36:37], s[24:25], v[22:23]
	v_fma_f64 v[10:11], v[16:17], s[20:21], v[24:25]
	;; [unrolled: 1-line block ×3, first 2 shown]
	v_fma_f64 v[34:35], v[36:37], s[26:27], -v[46:47]
	v_fma_f64 v[22:23], v[38:39], s[4:5], -v[22:23]
	v_fma_f64 v[20:21], v[20:21], s[16:17], v[2:3]
	v_fma_f64 v[24:25], v[14:15], s[22:23], -v[24:25]
	v_fma_f64 v[14:15], v[14:15], s[18:19], -v[28:29]
	v_fma_f64 v[28:29], v[48:49], s[24:25], v[30:31]
	v_fma_f64 v[18:19], v[18:19], s[16:17], v[0:1]
	v_fma_f64 v[36:37], v[48:49], s[26:27], -v[40:41]
	v_fma_f64 v[26:27], v[12:13], s[22:23], -v[26:27]
	;; [unrolled: 1-line block ×4, first 2 shown]
	v_fma_f64 v[8:9], v[4:5], s[28:29], v[8:9]
	v_fma_f64 v[32:33], v[4:5], s[28:29], v[34:35]
	;; [unrolled: 1-line block ×3, first 2 shown]
	v_add_f64 v[34:35], v[10:11], v[20:21]
	v_add_f64 v[22:23], v[24:25], v[20:21]
	;; [unrolled: 1-line block ×3, first 2 shown]
	v_fma_f64 v[28:29], v[6:7], s[28:29], v[28:29]
	v_add_f64 v[38:39], v[16:17], v[18:19]
	v_fma_f64 v[36:37], v[6:7], s[28:29], v[36:37]
	v_add_f64 v[40:41], v[26:27], v[18:19]
	v_fma_f64 v[30:31], v[6:7], s[28:29], v[30:31]
	v_add_f64 v[12:13], v[12:13], v[18:19]
	v_add_f64 v[26:27], v[34:35], -v[8:9]
	v_add_f64 v[10:11], v[32:33], v[22:23]
	v_add_f64 v[14:15], v[20:21], -v[4:5]
	v_add_f64 v[18:19], v[4:5], v[20:21]
	v_add_f64 v[24:25], v[28:29], v[38:39]
	v_add_f64 v[22:23], v[22:23], -v[32:33]
	v_add_f64 v[20:21], v[36:37], v[40:41]
	v_add_f64 v[6:7], v[8:9], v[34:35]
	v_add_f64 v[16:17], v[12:13], -v[30:31]
	v_add_f64 v[12:13], v[30:31], v[12:13]
	v_add_f64 v[8:9], v[40:41], -v[36:37]
	v_add_f64 v[4:5], v[38:39], -v[28:29]
	v_and_b32_e32 v28, 0xffff, v63
	v_lshlrev_b32_e32 v29, 4, v74
	s_delay_alu instid0(VALU_DEP_2) | instskip(NEXT) | instid1(VALU_DEP_1)
	v_mad_u32_u24 v28, 0xb60, v28, 0
	v_add3_u32 v28, v28, v29, v189
	ds_store_b128 v28, v[0:3]
	ds_store_b128 v28, v[24:27] offset:416
	ds_store_b128 v28, v[20:23] offset:832
	;; [unrolled: 1-line block ×6, first 2 shown]
.LBB0_17:
	s_or_b32 exec_lo, exec_lo, s1
	s_waitcnt lgkmcnt(0)
	s_barrier
	buffer_gl0_inv
	s_and_saveexec_b32 s0, vcc_lo
	s_cbranch_execz .LBB0_19
; %bb.18:
	v_dual_mov_b32 v1, 0 :: v_dual_lshlrev_b32 v0, 2, v56
	v_mad_u64_u32 v[96:97], null, s12, v188, 0
	v_lshlrev_b64 v[63:64], 4, v[64:65]
	v_lshrrev_b32_e32 v65, 1, v56
	s_delay_alu instid0(VALU_DEP_4)
	v_lshlrev_b64 v[2:3], 4, v[0:1]
	v_lshlrev_b32_e32 v0, 2, v188
	v_mul_lo_u32 v106, s3, v66
	v_mul_lo_u32 v107, s2, v67
	v_mul_hi_u32 v110, 0xb40b40b5, v65
	v_mov_b32_e32 v65, v97
	v_lshlrev_b64 v[0:1], 4, v[0:1]
	v_add_co_u32 v12, vcc_lo, s8, v2
	v_add_co_ci_u32_e32 v13, vcc_lo, s9, v3, vcc_lo
	v_mad_u64_u32 v[78:79], null, s2, v66, 0
	s_delay_alu instid0(VALU_DEP_4)
	v_add_co_u32 v28, vcc_lo, s8, v0
	v_add_co_ci_u32_e32 v29, vcc_lo, s9, v1, vcc_lo
	s_clause 0x7
	global_load_b128 v[0:3], v[12:13], off offset:2720
	global_load_b128 v[4:7], v[12:13], off offset:2704
	;; [unrolled: 1-line block ×8, first 2 shown]
	ds_load_b128 v[32:35], v59 offset:7280
	ds_load_b128 v[36:39], v59 offset:4368
	;; [unrolled: 1-line block ×8, first 2 shown]
	v_mad_u64_u32 v[98:99], null, s12, v57, 0
	v_add_nc_u32_e32 v108, 0x222, v188
	v_add3_u32 v79, v79, v107, v106
	s_mov_b32 s8, 0x134454ff
	s_mov_b32 s9, 0xbfee6f0e
	s_mov_b32 s11, 0x3fee6f0e
	s_mov_b32 s10, s8
	s_delay_alu instid0(VALU_DEP_3)
	v_mov_b32_e32 v97, v99
	v_mad_u64_u32 v[102:103], null, s12, v108, 0
	v_mad_u64_u32 v[100:101], null, s12, v58, 0
	s_mov_b32 s2, 0x4755a5e
	s_mov_b32 s3, 0x3fe2cf23
	s_mov_b32 s5, 0xbfe2cf23
	s_mov_b32 s4, s2
	s_mov_b32 s0, 0x372fe950
	s_mov_b32 s1, 0x3fd3c6ef
	s_waitcnt vmcnt(7) lgkmcnt(7)
	v_mul_f64 v[66:67], v[0:1], v[34:35]
	s_waitcnt vmcnt(6) lgkmcnt(6)
	v_mul_f64 v[80:81], v[4:5], v[38:39]
	;; [unrolled: 2-line block ×3, first 2 shown]
	v_mul_f64 v[42:43], v[10:11], v[42:43]
	s_waitcnt vmcnt(3) lgkmcnt(3)
	v_mul_f64 v[86:87], v[16:17], v[50:51]
	s_waitcnt vmcnt(2) lgkmcnt(2)
	v_mul_f64 v[88:89], v[20:21], v[54:55]
	s_waitcnt vmcnt(1) lgkmcnt(1)
	v_mul_f64 v[90:91], v[24:25], v[70:71]
	v_mul_f64 v[54:55], v[22:23], v[54:55]
	s_waitcnt vmcnt(0) lgkmcnt(0)
	v_mul_f64 v[94:95], v[30:31], v[74:75]
	v_mul_f64 v[50:51], v[18:19], v[50:51]
	;; [unrolled: 1-line block ×6, first 2 shown]
	ds_load_b128 v[74:77], v59 offset:1456
	ds_load_b128 v[59:62], v60
	v_mul_f64 v[84:85], v[12:13], v[46:47]
	v_mul_f64 v[46:47], v[14:15], v[46:47]
	v_fma_f64 v[2:3], v[2:3], v[32:33], v[66:67]
	v_fma_f64 v[6:7], v[6:7], v[36:37], v[80:81]
	;; [unrolled: 1-line block ×3, first 2 shown]
	v_fma_f64 v[8:9], v[40:41], v[8:9], -v[42:43]
	v_fma_f64 v[18:19], v[18:19], v[48:49], v[86:87]
	v_fma_f64 v[22:23], v[22:23], v[52:53], v[88:89]
	;; [unrolled: 1-line block ×3, first 2 shown]
	v_fma_f64 v[20:21], v[52:53], v[20:21], -v[54:55]
	v_fma_f64 v[28:29], v[72:73], v[28:29], -v[94:95]
	;; [unrolled: 1-line block ×3, first 2 shown]
	v_mad_u64_u32 v[48:49], null, s13, v188, v[65:66]
	v_fma_f64 v[4:5], v[36:37], v[4:5], -v[38:39]
	v_lshrrev_b32_e32 v39, 6, v110
	v_lshlrev_b64 v[49:50], 4, v[78:79]
	v_fma_f64 v[0:1], v[32:33], v[0:1], -v[34:35]
	v_mad_u64_u32 v[32:33], null, s13, v57, v[97:98]
	s_delay_alu instid0(VALU_DEP_4) | instskip(SKIP_3) | instid1(VALU_DEP_4)
	v_mad_u32_u24 v128, 0x2d8, v39, v56
	v_mov_b32_e32 v33, v103
	v_fma_f64 v[24:25], v[68:69], v[24:25], -v[70:71]
	v_add_co_u32 v49, vcc_lo, s6, v49
	v_add_nc_u32_e32 v132, 0x2d8, v128
	v_add_co_ci_u32_e32 v50, vcc_lo, s7, v50, vcc_lo
	s_delay_alu instid0(VALU_DEP_3) | instskip(NEXT) | instid1(VALU_DEP_3)
	v_add_co_u32 v133, vcc_lo, v49, v63
	v_mad_u64_u32 v[69:70], null, s12, v132, 0
	v_mov_b32_e32 v97, v48
	v_fma_f64 v[14:15], v[14:15], v[44:45], v[84:85]
	v_fma_f64 v[12:13], v[44:45], v[12:13], -v[46:47]
	v_fma_f64 v[30:31], v[30:31], v[72:73], v[92:93]
	v_dual_mov_b32 v99, v101 :: v_dual_add_nc_u32 v130, 0x16c, v128
	v_lshlrev_b64 v[48:49], 4, v[96:97]
	v_add_nc_u32_e32 v129, 0xb6, v128
	v_add_nc_u32_e32 v131, 0x222, v128
	s_delay_alu instid0(VALU_DEP_4)
	v_mad_u64_u32 v[34:35], null, s13, v58, v[99:100]
	v_mad_u64_u32 v[65:66], null, s12, v130, 0
	v_add_nc_u32_e32 v109, 0x2d8, v188
	v_add_f64 v[42:43], v[18:19], v[26:27]
	s_waitcnt lgkmcnt(0)
	v_add_f64 v[96:97], v[20:21], v[59:60]
	v_add_f64 v[86:87], v[20:21], -v[28:29]
	v_add_f64 v[44:45], v[20:21], v[28:29]
	v_add_f64 v[112:113], v[16:17], -v[20:21]
	v_add_f64 v[20:21], v[20:21], -v[16:17]
	v_mad_u64_u32 v[104:105], null, s12, v109, 0
	v_mad_u64_u32 v[36:37], null, s13, v108, v[33:34]
	;; [unrolled: 1-line block ×3, first 2 shown]
	v_add_co_ci_u32_e32 v134, vcc_lo, v50, v64, vcc_lo
	v_add_f64 v[46:47], v[16:17], v[24:25]
	v_add_f64 v[88:89], v[16:17], -v[24:25]
	v_mad_u64_u32 v[63:64], null, s12, v129, 0
	v_mad_u64_u32 v[67:68], null, s12, v131, 0
	v_mov_b32_e32 v35, v105
	v_mov_b32_e32 v99, v32
	;; [unrolled: 1-line block ×3, first 2 shown]
	v_add_f64 v[52:53], v[0:1], v[8:9]
	v_add_f64 v[84:85], v[4:5], v[74:75]
	;; [unrolled: 1-line block ×5, first 2 shown]
	v_add_f64 v[94:95], v[22:23], -v[30:31]
	v_add_f64 v[80:81], v[0:1], -v[8:9]
	v_add_f64 v[82:83], v[6:7], v[76:77]
	v_add_f64 v[92:93], v[18:19], -v[26:27]
	v_add_f64 v[78:79], v[4:5], -v[12:13]
	v_lshlrev_b64 v[56:57], 4, v[100:101]
	v_add_f64 v[100:101], v[0:1], -v[4:5]
	v_add_f64 v[4:5], v[4:5], -v[0:1]
	;; [unrolled: 1-line block ×3, first 2 shown]
	v_mov_b32_e32 v103, v36
	v_fma_f64 v[42:43], v[42:43], -0.5, v[61:62]
	v_add_f64 v[16:17], v[16:17], v[96:97]
	v_lshlrev_b64 v[50:51], 4, v[98:99]
	v_fma_f64 v[44:45], v[44:45], -0.5, v[59:60]
	v_add_f64 v[98:99], v[14:15], -v[10:11]
	v_add_f64 v[110:111], v[30:31], -v[26:27]
	;; [unrolled: 1-line block ×4, first 2 shown]
	v_add_co_u32 v48, vcc_lo, v133, v48
	v_add_co_ci_u32_e32 v49, vcc_lo, v134, v49, vcc_lo
	v_add_co_u32 v50, vcc_lo, v133, v50
	v_fma_f64 v[46:47], v[46:47], -0.5, v[59:60]
	v_add_f64 v[58:59], v[2:3], -v[10:11]
	v_add_co_ci_u32_e32 v51, vcc_lo, v134, v51, vcc_lo
	v_add_co_u32 v56, vcc_lo, v133, v56
	v_add_co_ci_u32_e32 v57, vcc_lo, v134, v57, vcc_lo
	v_fma_f64 v[52:53], v[52:53], -0.5, v[74:75]
	v_add_f64 v[0:1], v[0:1], v[84:85]
	v_fma_f64 v[32:33], v[32:33], -0.5, v[76:77]
	v_fma_f64 v[54:55], v[54:55], -0.5, v[74:75]
	v_add_f64 v[73:74], v[2:3], -v[6:7]
	v_fma_f64 v[96:97], v[86:87], s[10:11], v[42:43]
	v_fma_f64 v[42:43], v[86:87], s[8:9], v[42:43]
	;; [unrolled: 1-line block ×6, first 2 shown]
	v_add_f64 v[0:1], v[8:9], v[0:1]
	v_fma_f64 v[124:125], v[58:59], s[8:9], v[54:55]
	v_fma_f64 v[54:55], v[58:59], s[10:11], v[54:55]
	v_mad_u64_u32 v[126:127], null, s13, v128, v[41:42]
	v_mov_b32_e32 v41, v64
	v_mov_b32_e32 v64, v68
	v_mad_u64_u32 v[37:38], null, s13, v109, v[35:36]
	v_add_f64 v[38:39], v[22:23], v[30:31]
	v_add_f64 v[34:35], v[2:3], v[10:11]
	v_add_f64 v[22:23], v[22:23], -v[18:19]
	v_add_f64 v[18:19], v[18:19], v[90:91]
	v_add_f64 v[108:109], v[26:27], -v[30:31]
	v_fma_f64 v[44:45], v[94:95], s[4:5], v[44:45]
	v_mov_b32_e32 v105, v37
	v_lshlrev_b64 v[36:37], 4, v[102:103]
	v_add_f64 v[102:103], v[8:9], -v[12:13]
	v_fma_f64 v[46:47], v[92:93], s[4:5], v[46:47]
	s_delay_alu instid0(VALU_DEP_4)
	v_lshlrev_b64 v[71:72], 4, v[104:105]
	v_add_f64 v[104:105], v[12:13], -v[8:9]
	v_add_f64 v[8:9], v[24:25], v[16:17]
	v_add_f64 v[0:1], v[12:13], v[0:1]
	v_fma_f64 v[38:39], v[38:39], -0.5, v[61:62]
	v_fma_f64 v[34:35], v[34:35], -0.5, v[76:77]
	v_add_f64 v[60:61], v[6:7], -v[14:15]
	v_add_f64 v[75:76], v[10:11], -v[14:15]
	;; [unrolled: 1-line block ×3, first 2 shown]
	v_add_f64 v[2:3], v[2:3], v[82:83]
	v_fma_f64 v[82:83], v[80:81], s[8:9], v[32:33]
	v_fma_f64 v[32:33], v[80:81], s[10:11], v[32:33]
	v_mov_b32_e32 v62, v66
	v_mov_b32_e32 v66, v70
	v_fma_f64 v[90:91], v[88:89], s[8:9], v[38:39]
	v_fma_f64 v[38:39], v[88:89], s[10:11], v[38:39]
	;; [unrolled: 1-line block ×6, first 2 shown]
	v_add_f64 v[73:74], v[73:74], v[75:76]
	v_add_f64 v[75:76], v[6:7], v[98:99]
	;; [unrolled: 1-line block ×8, first 2 shown]
	v_fma_f64 v[16:17], v[78:79], s[4:5], v[32:33]
	v_fma_f64 v[32:33], v[88:89], s[2:3], v[96:97]
	v_add_f64 v[106:107], v[112:113], v[114:115]
	v_add_f64 v[2:3], v[10:11], v[2:3]
	v_fma_f64 v[10:11], v[78:79], s[2:3], v[82:83]
	v_fma_f64 v[77:78], v[94:95], s[2:3], v[120:121]
	;; [unrolled: 1-line block ×12, first 2 shown]
	v_add_co_u32 v58, vcc_lo, v133, v36
	v_add_co_ci_u32_e32 v59, vcc_lo, v134, v37, vcc_lo
	v_add_co_u32 v60, vcc_lo, v133, v71
	v_mad_u64_u32 v[70:71], null, s13, v130, v[62:63]
	v_mad_u64_u32 v[85:86], null, s13, v132, v[66:67]
	v_add_co_ci_u32_e32 v61, vcc_lo, v134, v72, vcc_lo
	v_add_f64 v[2:3], v[14:15], v[2:3]
	v_fma_f64 v[14:15], v[73:74], s[0:1], v[16:17]
	v_mov_b32_e32 v66, v70
	v_fma_f64 v[10:11], v[73:74], s[0:1], v[10:11]
	v_mov_b32_e32 v70, v85
	v_mad_u64_u32 v[71:72], null, s13, v131, v[64:65]
	s_delay_alu instid0(VALU_DEP_1)
	v_mov_b32_e32 v68, v71
	v_fma_f64 v[22:23], v[102:103], s[0:1], v[20:21]
	v_fma_f64 v[26:27], v[102:103], s[0:1], v[24:25]
	;; [unrolled: 1-line block ×3, first 2 shown]
	v_mad_u64_u32 v[6:7], null, s13, v129, v[41:42]
	v_fma_f64 v[24:25], v[106:107], s[0:1], v[77:78]
	v_fma_f64 v[20:21], v[106:107], s[0:1], v[44:45]
	v_fma_f64 v[38:39], v[75:76], s[0:1], v[79:80]
	v_fma_f64 v[36:37], v[100:101], s[0:1], v[81:82]
	v_fma_f64 v[12:13], v[98:99], s[0:1], v[83:84]
	v_fma_f64 v[18:19], v[75:76], s[0:1], v[18:19]
	v_mov_b32_e32 v64, v6
	v_add_f64 v[6:7], v[30:31], v[4:5]
	v_add_f64 v[4:5], v[28:29], v[8:9]
	v_fma_f64 v[30:31], v[104:105], s[0:1], v[32:33]
	v_fma_f64 v[32:33], v[108:109], s[0:1], v[42:43]
	;; [unrolled: 1-line block ×5, first 2 shown]
	v_mov_b32_e32 v41, v126
	v_lshlrev_b64 v[42:43], 4, v[63:64]
	v_lshlrev_b64 v[44:45], 4, v[65:66]
	;; [unrolled: 1-line block ×5, first 2 shown]
	s_delay_alu instid0(VALU_DEP_1) | instskip(NEXT) | instid1(VALU_DEP_2)
	v_add_co_u32 v40, vcc_lo, v133, v40
	v_add_co_ci_u32_e32 v41, vcc_lo, v134, v41, vcc_lo
	v_add_co_u32 v42, vcc_lo, v133, v42
	v_add_co_ci_u32_e32 v43, vcc_lo, v134, v43, vcc_lo
	;; [unrolled: 2-line block ×5, first 2 shown]
	s_clause 0x9
	global_store_b128 v[48:49], v[4:7], off
	global_store_b128 v[50:51], v[32:35], off
	;; [unrolled: 1-line block ×10, first 2 shown]
.LBB0_19:
	s_nop 0
	s_sendmsg sendmsg(MSG_DEALLOC_VGPRS)
	s_endpgm
	.section	.rodata,"a",@progbits
	.p2align	6, 0x0
	.amdhsa_kernel fft_rtc_fwd_len910_factors_13_2_7_5_wgs_182_tpt_91_dp_op_CI_CI_sbrr_dirReg
		.amdhsa_group_segment_fixed_size 0
		.amdhsa_private_segment_fixed_size 0
		.amdhsa_kernarg_size 104
		.amdhsa_user_sgpr_count 15
		.amdhsa_user_sgpr_dispatch_ptr 0
		.amdhsa_user_sgpr_queue_ptr 0
		.amdhsa_user_sgpr_kernarg_segment_ptr 1
		.amdhsa_user_sgpr_dispatch_id 0
		.amdhsa_user_sgpr_private_segment_size 0
		.amdhsa_wavefront_size32 1
		.amdhsa_uses_dynamic_stack 0
		.amdhsa_enable_private_segment 0
		.amdhsa_system_sgpr_workgroup_id_x 1
		.amdhsa_system_sgpr_workgroup_id_y 0
		.amdhsa_system_sgpr_workgroup_id_z 0
		.amdhsa_system_sgpr_workgroup_info 0
		.amdhsa_system_vgpr_workitem_id 0
		.amdhsa_next_free_vgpr 216
		.amdhsa_next_free_sgpr 44
		.amdhsa_reserve_vcc 1
		.amdhsa_float_round_mode_32 0
		.amdhsa_float_round_mode_16_64 0
		.amdhsa_float_denorm_mode_32 3
		.amdhsa_float_denorm_mode_16_64 3
		.amdhsa_dx10_clamp 1
		.amdhsa_ieee_mode 1
		.amdhsa_fp16_overflow 0
		.amdhsa_workgroup_processor_mode 1
		.amdhsa_memory_ordered 1
		.amdhsa_forward_progress 0
		.amdhsa_shared_vgpr_count 0
		.amdhsa_exception_fp_ieee_invalid_op 0
		.amdhsa_exception_fp_denorm_src 0
		.amdhsa_exception_fp_ieee_div_zero 0
		.amdhsa_exception_fp_ieee_overflow 0
		.amdhsa_exception_fp_ieee_underflow 0
		.amdhsa_exception_fp_ieee_inexact 0
		.amdhsa_exception_int_div_zero 0
	.end_amdhsa_kernel
	.text
.Lfunc_end0:
	.size	fft_rtc_fwd_len910_factors_13_2_7_5_wgs_182_tpt_91_dp_op_CI_CI_sbrr_dirReg, .Lfunc_end0-fft_rtc_fwd_len910_factors_13_2_7_5_wgs_182_tpt_91_dp_op_CI_CI_sbrr_dirReg
                                        ; -- End function
	.section	.AMDGPU.csdata,"",@progbits
; Kernel info:
; codeLenInByte = 12020
; NumSgprs: 46
; NumVgprs: 216
; ScratchSize: 0
; MemoryBound: 1
; FloatMode: 240
; IeeeMode: 1
; LDSByteSize: 0 bytes/workgroup (compile time only)
; SGPRBlocks: 5
; VGPRBlocks: 26
; NumSGPRsForWavesPerEU: 46
; NumVGPRsForWavesPerEU: 216
; Occupancy: 7
; WaveLimiterHint : 1
; COMPUTE_PGM_RSRC2:SCRATCH_EN: 0
; COMPUTE_PGM_RSRC2:USER_SGPR: 15
; COMPUTE_PGM_RSRC2:TRAP_HANDLER: 0
; COMPUTE_PGM_RSRC2:TGID_X_EN: 1
; COMPUTE_PGM_RSRC2:TGID_Y_EN: 0
; COMPUTE_PGM_RSRC2:TGID_Z_EN: 0
; COMPUTE_PGM_RSRC2:TIDIG_COMP_CNT: 0
	.text
	.p2alignl 7, 3214868480
	.fill 96, 4, 3214868480
	.type	__hip_cuid_5889fe0a9a29b32e,@object ; @__hip_cuid_5889fe0a9a29b32e
	.section	.bss,"aw",@nobits
	.globl	__hip_cuid_5889fe0a9a29b32e
__hip_cuid_5889fe0a9a29b32e:
	.byte	0                               ; 0x0
	.size	__hip_cuid_5889fe0a9a29b32e, 1

	.ident	"AMD clang version 19.0.0git (https://github.com/RadeonOpenCompute/llvm-project roc-6.4.0 25133 c7fe45cf4b819c5991fe208aaa96edf142730f1d)"
	.section	".note.GNU-stack","",@progbits
	.addrsig
	.addrsig_sym __hip_cuid_5889fe0a9a29b32e
	.amdgpu_metadata
---
amdhsa.kernels:
  - .args:
      - .actual_access:  read_only
        .address_space:  global
        .offset:         0
        .size:           8
        .value_kind:     global_buffer
      - .offset:         8
        .size:           8
        .value_kind:     by_value
      - .actual_access:  read_only
        .address_space:  global
        .offset:         16
        .size:           8
        .value_kind:     global_buffer
      - .actual_access:  read_only
        .address_space:  global
        .offset:         24
        .size:           8
        .value_kind:     global_buffer
      - .actual_access:  read_only
        .address_space:  global
        .offset:         32
        .size:           8
        .value_kind:     global_buffer
      - .offset:         40
        .size:           8
        .value_kind:     by_value
      - .actual_access:  read_only
        .address_space:  global
        .offset:         48
        .size:           8
        .value_kind:     global_buffer
      - .actual_access:  read_only
        .address_space:  global
        .offset:         56
        .size:           8
        .value_kind:     global_buffer
      - .offset:         64
        .size:           4
        .value_kind:     by_value
      - .actual_access:  read_only
        .address_space:  global
        .offset:         72
        .size:           8
        .value_kind:     global_buffer
      - .actual_access:  read_only
        .address_space:  global
        .offset:         80
        .size:           8
        .value_kind:     global_buffer
      - .actual_access:  read_only
        .address_space:  global
        .offset:         88
        .size:           8
        .value_kind:     global_buffer
      - .actual_access:  write_only
        .address_space:  global
        .offset:         96
        .size:           8
        .value_kind:     global_buffer
    .group_segment_fixed_size: 0
    .kernarg_segment_align: 8
    .kernarg_segment_size: 104
    .language:       OpenCL C
    .language_version:
      - 2
      - 0
    .max_flat_workgroup_size: 182
    .name:           fft_rtc_fwd_len910_factors_13_2_7_5_wgs_182_tpt_91_dp_op_CI_CI_sbrr_dirReg
    .private_segment_fixed_size: 0
    .sgpr_count:     46
    .sgpr_spill_count: 0
    .symbol:         fft_rtc_fwd_len910_factors_13_2_7_5_wgs_182_tpt_91_dp_op_CI_CI_sbrr_dirReg.kd
    .uniform_work_group_size: 1
    .uses_dynamic_stack: false
    .vgpr_count:     216
    .vgpr_spill_count: 0
    .wavefront_size: 32
    .workgroup_processor_mode: 1
amdhsa.target:   amdgcn-amd-amdhsa--gfx1100
amdhsa.version:
  - 1
  - 2
...

	.end_amdgpu_metadata
